;; amdgpu-corpus repo=zjin-lcf/HeCBench kind=compiled arch=gfx1100 opt=O3
	.text
	.amdgcn_target "amdgcn-amd-amdhsa--gfx1100"
	.amdhsa_code_object_version 6
	.protected	_Z9initTablePyy         ; -- Begin function _Z9initTablePyy
	.globl	_Z9initTablePyy
	.p2align	8
	.type	_Z9initTablePyy,@function
_Z9initTablePyy:                        ; @_Z9initTablePyy
; %bb.0:
	s_clause 0x1
	s_load_b32 s4, s[0:1], 0x1c
	s_load_b128 s[0:3], s[0:1], 0x0
	s_waitcnt lgkmcnt(0)
	s_and_b32 s4, s4, 0xffff
	s_delay_alu instid0(SALU_CYCLE_1) | instskip(NEXT) | instid1(VALU_DEP_1)
	v_mad_u64_u32 v[1:2], null, s15, s4, v[0:1]
	v_ashrrev_i32_e32 v2, 31, v1
	s_delay_alu instid0(VALU_DEP_1)
	v_cmp_gt_u64_e32 vcc_lo, s[2:3], v[1:2]
	s_and_saveexec_b32 s2, vcc_lo
	s_cbranch_execz .LBB0_2
; %bb.1:
	v_lshlrev_b64 v[3:4], 3, v[1:2]
	s_delay_alu instid0(VALU_DEP_1) | instskip(NEXT) | instid1(VALU_DEP_2)
	v_add_co_u32 v3, vcc_lo, s0, v3
	v_add_co_ci_u32_e32 v4, vcc_lo, s1, v4, vcc_lo
	global_store_b64 v[3:4], v[1:2], off
.LBB0_2:
	s_nop 0
	s_sendmsg sendmsg(MSG_DEALLOC_VGPRS)
	s_endpgm
	.section	.rodata,"a",@progbits
	.p2align	6, 0x0
	.amdhsa_kernel _Z9initTablePyy
		.amdhsa_group_segment_fixed_size 0
		.amdhsa_private_segment_fixed_size 0
		.amdhsa_kernarg_size 272
		.amdhsa_user_sgpr_count 15
		.amdhsa_user_sgpr_dispatch_ptr 0
		.amdhsa_user_sgpr_queue_ptr 0
		.amdhsa_user_sgpr_kernarg_segment_ptr 1
		.amdhsa_user_sgpr_dispatch_id 0
		.amdhsa_user_sgpr_private_segment_size 0
		.amdhsa_wavefront_size32 1
		.amdhsa_uses_dynamic_stack 0
		.amdhsa_enable_private_segment 0
		.amdhsa_system_sgpr_workgroup_id_x 1
		.amdhsa_system_sgpr_workgroup_id_y 0
		.amdhsa_system_sgpr_workgroup_id_z 0
		.amdhsa_system_sgpr_workgroup_info 0
		.amdhsa_system_vgpr_workitem_id 0
		.amdhsa_next_free_vgpr 5
		.amdhsa_next_free_sgpr 16
		.amdhsa_reserve_vcc 1
		.amdhsa_float_round_mode_32 0
		.amdhsa_float_round_mode_16_64 0
		.amdhsa_float_denorm_mode_32 3
		.amdhsa_float_denorm_mode_16_64 3
		.amdhsa_dx10_clamp 1
		.amdhsa_ieee_mode 1
		.amdhsa_fp16_overflow 0
		.amdhsa_workgroup_processor_mode 1
		.amdhsa_memory_ordered 1
		.amdhsa_forward_progress 0
		.amdhsa_shared_vgpr_count 0
		.amdhsa_exception_fp_ieee_invalid_op 0
		.amdhsa_exception_fp_denorm_src 0
		.amdhsa_exception_fp_ieee_div_zero 0
		.amdhsa_exception_fp_ieee_overflow 0
		.amdhsa_exception_fp_ieee_underflow 0
		.amdhsa_exception_fp_ieee_inexact 0
		.amdhsa_exception_int_div_zero 0
	.end_amdhsa_kernel
	.text
.Lfunc_end0:
	.size	_Z9initTablePyy, .Lfunc_end0-_Z9initTablePyy
                                        ; -- End function
	.section	.AMDGPU.csdata,"",@progbits
; Kernel info:
; codeLenInByte = 108
; NumSgprs: 18
; NumVgprs: 5
; ScratchSize: 0
; MemoryBound: 0
; FloatMode: 240
; IeeeMode: 1
; LDSByteSize: 0 bytes/workgroup (compile time only)
; SGPRBlocks: 2
; VGPRBlocks: 0
; NumSGPRsForWavesPerEU: 18
; NumVGPRsForWavesPerEU: 5
; Occupancy: 16
; WaveLimiterHint : 0
; COMPUTE_PGM_RSRC2:SCRATCH_EN: 0
; COMPUTE_PGM_RSRC2:USER_SGPR: 15
; COMPUTE_PGM_RSRC2:TRAP_HANDLER: 0
; COMPUTE_PGM_RSRC2:TGID_X_EN: 1
; COMPUTE_PGM_RSRC2:TGID_Y_EN: 0
; COMPUTE_PGM_RSRC2:TGID_Z_EN: 0
; COMPUTE_PGM_RSRC2:TIDIG_COMP_CNT: 0
	.text
	.protected	_Z6updatePyy            ; -- Begin function _Z6updatePyy
	.globl	_Z6updatePyy
	.p2align	8
	.type	_Z6updatePyy,@function
_Z6updatePyy:                           ; @_Z6updatePyy
; %bb.0:
	s_load_b128 s[4:7], s[0:1], 0x0
	s_waitcnt lgkmcnt(0)
	v_alignbit_b32 v3, s7, s6, 5
	s_lshr_b64 s[2:3], s[6:7], 5
	s_delay_alu instid0(SALU_CYCLE_1) | instskip(SKIP_1) | instid1(VALU_DEP_1)
	s_and_b32 s3, s3, 0x1ffffff
	s_add_u32 s0, 0, 0
	v_mad_u64_u32 v[1:2], null, v3, v0, 0
	v_add_co_u32 v5, s0, s0, 13
	s_addc_u32 s1, 0, 0
	s_cmp_lg_u32 s0, 0
	s_delay_alu instid0(VALU_DEP_1) | instskip(NEXT) | instid1(VALU_DEP_3)
	v_readfirstlane_b32 s0, v5
	v_mad_u64_u32 v[3:4], null, s3, v0, v[2:3]
	s_addc_u32 s1, s1, 0
	s_delay_alu instid0(VALU_DEP_2)
	s_mul_i32 s10, s0, 0xedb6db6d
	s_mul_hi_u32 s11, s0, 0xb6db6db7
	s_mul_i32 s8, s1, 0xb6db6db7
	s_add_i32 s10, s11, s10
	s_mul_i32 s9, s0, 0xb6db6db7
	s_add_i32 s10, s10, s8
	v_mov_b32_e32 v2, v3
	s_mul_hi_u32 s12, s1, s9
	s_mul_i32 s13, s1, s9
	s_mul_hi_u32 s8, s0, s9
	s_mul_hi_u32 s9, s0, s10
	s_mul_i32 s0, s0, s10
	v_cmp_lt_i64_e32 vcc_lo, 0, v[1:2]
	s_add_u32 s0, s8, s0
	s_addc_u32 s8, 0, s9
	s_mul_hi_u32 s11, s1, s10
	s_add_u32 s0, s0, s13
	v_ashrrev_i32_e32 v0, 31, v3
	s_mul_i32 s10, s1, s10
	s_addc_u32 s0, s8, s12
	s_addc_u32 s8, s11, 0
	s_add_u32 s0, s0, s10
	v_cndmask_b32_e32 v4, 0, v3, vcc_lo
	v_add_co_u32 v10, s0, v5, s0
	v_cndmask_b32_e32 v5, 0, v1, vcc_lo
	v_sub_co_u32 v6, vcc_lo, v0, v1
	v_sub_co_ci_u32_e32 v0, vcc_lo, v0, v2, vcc_lo
	s_addc_u32 s8, 0, s8
	s_delay_alu instid0(VALU_DEP_2) | instskip(SKIP_1) | instid1(VALU_DEP_2)
	v_add_co_u32 v11, vcc_lo, v6, v5
	s_cmp_lg_u32 s0, 0
	v_add_co_ci_u32_e32 v0, vcc_lo, v0, v4, vcc_lo
	s_addc_u32 s8, s1, s8
	s_delay_alu instid0(VALU_DEP_2) | instskip(SKIP_1) | instid1(VALU_DEP_3)
	v_mul_hi_u32 v12, v11, v10
	v_mad_u64_u32 v[4:5], null, v11, s8, 0
	v_mad_u64_u32 v[6:7], null, v0, v10, 0
	;; [unrolled: 1-line block ×3, first 2 shown]
	v_lshrrev_b32_e32 v3, 31, v3
	s_delay_alu instid0(VALU_DEP_4) | instskip(SKIP_1) | instid1(VALU_DEP_2)
	v_add_co_u32 v4, vcc_lo, v12, v4
	v_add_co_ci_u32_e32 v5, vcc_lo, 0, v5, vcc_lo
	v_add_co_u32 v4, vcc_lo, v4, v6
	s_delay_alu instid0(VALU_DEP_2) | instskip(SKIP_1) | instid1(VALU_DEP_2)
	v_add_co_ci_u32_e32 v4, vcc_lo, v5, v7, vcc_lo
	v_add_co_ci_u32_e32 v5, vcc_lo, 0, v9, vcc_lo
	v_add_co_u32 v6, vcc_lo, v4, v8
	s_delay_alu instid0(VALU_DEP_2) | instskip(NEXT) | instid1(VALU_DEP_2)
	v_add_co_ci_u32_e32 v7, vcc_lo, 0, v5, vcc_lo
	v_mul_lo_u32 v8, 0x12492492, v6
	v_mad_u64_u32 v[4:5], null, 0x49249249, v6, 0
	s_delay_alu instid0(VALU_DEP_3) | instskip(NEXT) | instid1(VALU_DEP_2)
	v_mul_lo_u32 v7, 0x49249249, v7
	v_sub_co_u32 v4, vcc_lo, v11, v4
	s_delay_alu instid0(VALU_DEP_2) | instskip(SKIP_1) | instid1(VALU_DEP_2)
	v_add3_u32 v5, v5, v8, v7
	v_add_nc_u32_e32 v8, 2, v6
	v_sub_nc_u32_e32 v7, v0, v5
	s_delay_alu instid0(VALU_DEP_1) | instskip(SKIP_2) | instid1(VALU_DEP_3)
	v_subrev_co_ci_u32_e64 v7, s0, 0x12492492, v7, vcc_lo
	v_subrev_co_u32 v9, s0, 0x49249249, v4
	v_sub_co_ci_u32_e32 v0, vcc_lo, v0, v5, vcc_lo
	v_subrev_co_ci_u32_e64 v7, s0, 0, v7, s0
	s_delay_alu instid0(VALU_DEP_3)
	v_cmp_lt_u32_e32 vcc_lo, 0x49249248, v9
	s_mov_b32 s0, 0x49249249
	s_mov_b32 s1, 0x12492492
	v_cndmask_b32_e64 v5, 0, -1, vcc_lo
	v_cmp_lt_u32_e32 vcc_lo, 0x12492491, v7
	v_cndmask_b32_e64 v9, 0, -1, vcc_lo
	v_cmp_lt_u32_e32 vcc_lo, 0x49249248, v4
	;; [unrolled: 2-line block ×3, first 2 shown]
	v_cndmask_b32_e64 v11, 0, -1, vcc_lo
	v_cmp_eq_u32_e32 vcc_lo, 0x12492492, v7
	v_cndmask_b32_e32 v5, v9, v5, vcc_lo
	v_cmp_eq_u32_e32 vcc_lo, 0x12492492, v0
	s_delay_alu instid0(VALU_DEP_4) | instskip(NEXT) | instid1(VALU_DEP_3)
	v_dual_cndmask_b32 v0, v11, v4 :: v_dual_add_nc_u32 v7, 1, v6
	v_cmp_ne_u32_e32 vcc_lo, 0, v5
	s_delay_alu instid0(VALU_DEP_2) | instskip(NEXT) | instid1(VALU_DEP_3)
	v_cndmask_b32_e32 v4, v7, v8, vcc_lo
	v_cmp_ne_u32_e32 vcc_lo, 0, v0
	s_delay_alu instid0(VALU_DEP_2) | instskip(NEXT) | instid1(VALU_DEP_1)
	v_cndmask_b32_e32 v0, v6, v4, vcc_lo
	v_add_nc_u32_e32 v5, v0, v3
	s_delay_alu instid0(VALU_DEP_1) | instskip(NEXT) | instid1(VALU_DEP_1)
	v_mad_u64_u32 v[3:4], null, 0x49249249, v5, v[1:2]
	v_mov_b32_e32 v0, v4
	s_delay_alu instid0(VALU_DEP_1) | instskip(NEXT) | instid1(VALU_DEP_1)
	v_mad_u64_u32 v[1:2], null, 0x12492492, v5, v[0:1]
	v_mov_b32_e32 v4, v1
	s_delay_alu instid0(VALU_DEP_1) | instskip(SKIP_3) | instid1(VALU_DEP_1)
	v_cmp_gt_i64_e32 vcc_lo, s[0:1], v[3:4]
	s_mov_b32 s1, exec_lo
	v_cndmask_b32_e32 v0, 0x12492492, v1, vcc_lo
	v_cndmask_b32_e32 v1, 0x49249249, v3, vcc_lo
	v_sub_co_u32 v1, vcc_lo, v3, v1
	s_delay_alu instid0(VALU_DEP_3) | instskip(NEXT) | instid1(VALU_DEP_2)
	v_sub_co_ci_u32_e32 v0, vcc_lo, v4, v0, vcc_lo
	v_add_co_u32 v2, vcc_lo, 0x49249248, v1
	s_delay_alu instid0(VALU_DEP_2) | instskip(NEXT) | instid1(VALU_DEP_2)
	v_add_co_ci_u32_e32 v9, vcc_lo, 0x12492492, v0, vcc_lo
	v_mad_u64_u32 v[0:1], null, v2, s8, 0
	v_mul_hi_u32 v11, v2, v10
	s_delay_alu instid0(VALU_DEP_3) | instskip(SKIP_1) | instid1(VALU_DEP_3)
	v_mad_u64_u32 v[5:6], null, v9, v10, 0
	v_mad_u64_u32 v[7:8], null, v9, s8, 0
	v_add_co_u32 v0, vcc_lo, v11, v0
	v_add_co_ci_u32_e32 v1, vcc_lo, 0, v1, vcc_lo
	s_delay_alu instid0(VALU_DEP_2) | instskip(NEXT) | instid1(VALU_DEP_2)
	v_add_co_u32 v0, vcc_lo, v0, v5
	v_add_co_ci_u32_e32 v0, vcc_lo, v1, v6, vcc_lo
	v_add_co_ci_u32_e32 v1, vcc_lo, 0, v8, vcc_lo
	s_delay_alu instid0(VALU_DEP_2) | instskip(NEXT) | instid1(VALU_DEP_2)
	v_add_co_u32 v5, vcc_lo, v0, v7
	v_add_co_ci_u32_e32 v6, vcc_lo, 0, v1, vcc_lo
	s_delay_alu instid0(VALU_DEP_2) | instskip(SKIP_1) | instid1(VALU_DEP_3)
	v_mul_lo_u32 v7, 0x12492492, v5
	v_mad_u64_u32 v[0:1], null, 0x49249249, v5, 0
	v_mul_lo_u32 v5, 0x49249249, v6
	s_delay_alu instid0(VALU_DEP_2) | instskip(NEXT) | instid1(VALU_DEP_2)
	v_sub_co_u32 v0, vcc_lo, v2, v0
	v_add3_u32 v1, v1, v7, v5
	s_delay_alu instid0(VALU_DEP_1) | instskip(NEXT) | instid1(VALU_DEP_1)
	v_sub_nc_u32_e32 v5, v9, v1
	v_subrev_co_ci_u32_e64 v5, s0, 0x12492492, v5, vcc_lo
	v_sub_co_ci_u32_e32 v1, vcc_lo, v9, v1, vcc_lo
	v_subrev_co_u32 v6, vcc_lo, 0x49249249, v0
	s_delay_alu instid0(VALU_DEP_1) | instskip(SKIP_3) | instid1(VALU_DEP_3)
	v_subrev_co_ci_u32_e64 v7, s0, 0, v5, vcc_lo
	v_cmp_lt_u32_e64 s0, 0x49249248, v0
	v_subrev_co_ci_u32_e32 v5, vcc_lo, 0x12492492, v5, vcc_lo
	v_cmp_lt_u32_e32 vcc_lo, 0x12492491, v1
	v_cndmask_b32_e64 v8, 0, -1, s0
	v_cmp_lt_u32_e64 s0, 0x49249248, v6
	v_cndmask_b32_e64 v12, 0, -1, vcc_lo
	v_cmp_eq_u32_e32 vcc_lo, 0x12492492, v7
	s_delay_alu instid0(VALU_DEP_3) | instskip(SKIP_1) | instid1(VALU_DEP_1)
	v_cndmask_b32_e64 v10, 0, -1, s0
	v_cmp_lt_u32_e64 s0, 0x12492491, v7
	v_cndmask_b32_e64 v11, 0, -1, s0
	v_cmp_eq_u32_e64 s0, 0x12492492, v1
	s_delay_alu instid0(VALU_DEP_2) | instskip(SKIP_2) | instid1(VALU_DEP_3)
	v_cndmask_b32_e32 v10, v11, v10, vcc_lo
	v_subrev_co_u32 v11, vcc_lo, 0x49249249, v6
	v_subrev_co_ci_u32_e32 v5, vcc_lo, 0, v5, vcc_lo
	v_cmp_ne_u32_e32 vcc_lo, 0, v10
	v_cndmask_b32_e64 v8, v12, v8, s0
	s_mov_b32 s0, 0
	s_delay_alu instid0(VALU_DEP_3) | instskip(NEXT) | instid1(VALU_DEP_2)
	v_dual_cndmask_b32 v5, v7, v5 :: v_dual_cndmask_b32 v6, v6, v11
	v_cmp_ne_u32_e32 vcc_lo, 0, v8
	s_delay_alu instid0(VALU_DEP_2) | instskip(NEXT) | instid1(VALU_DEP_1)
	v_dual_cndmask_b32 v0, v0, v6 :: v_dual_cndmask_b32 v1, v1, v5
	v_sub_co_u32 v0, vcc_lo, v0, v2
	s_delay_alu instid0(VALU_DEP_2) | instskip(NEXT) | instid1(VALU_DEP_2)
	v_sub_co_ci_u32_e32 v1, vcc_lo, v1, v9, vcc_lo
	v_add_co_u32 v0, vcc_lo, v0, v3
	v_mov_b32_e32 v2, 1
	v_mov_b32_e32 v3, 0
	s_delay_alu instid0(VALU_DEP_4) | instskip(NEXT) | instid1(VALU_DEP_1)
	v_add_co_ci_u32_e32 v1, vcc_lo, v1, v4, vcc_lo
	v_cmpx_ne_u64_e32 0, v[0:1]
	s_cbranch_execz .LBB1_28
; %bb.1:
	v_mov_b32_e32 v3, 0
	s_mov_b32 s8, 54
                                        ; implicit-def: $sgpr9
	s_branch .LBB1_11
.LBB1_2:                                ;   in Loop: Header=BB1_11 Depth=1
	s_or_b32 exec_lo, exec_lo, s19
	s_delay_alu instid0(SALU_CYCLE_1)
	s_or_not1_b32 s18, s18, exec_lo
.LBB1_3:                                ;   in Loop: Header=BB1_11 Depth=1
	s_or_b32 exec_lo, exec_lo, s17
	s_delay_alu instid0(SALU_CYCLE_1)
	s_or_not1_b32 s17, s18, exec_lo
.LBB1_4:                                ;   in Loop: Header=BB1_11 Depth=1
	s_or_b32 exec_lo, exec_lo, s16
	s_delay_alu instid0(SALU_CYCLE_1)
	s_or_not1_b32 s16, s17, exec_lo
.LBB1_5:                                ;   in Loop: Header=BB1_11 Depth=1
	s_or_b32 exec_lo, exec_lo, s15
	s_delay_alu instid0(SALU_CYCLE_1)
	s_or_not1_b32 s15, s16, exec_lo
.LBB1_6:                                ;   in Loop: Header=BB1_11 Depth=1
	s_or_b32 exec_lo, exec_lo, s14
	s_delay_alu instid0(SALU_CYCLE_1)
	s_or_not1_b32 s14, s15, exec_lo
.LBB1_7:                                ;   in Loop: Header=BB1_11 Depth=1
	s_or_b32 exec_lo, exec_lo, s13
	s_delay_alu instid0(SALU_CYCLE_1)
	s_or_not1_b32 s13, s14, exec_lo
.LBB1_8:                                ;   in Loop: Header=BB1_11 Depth=1
	s_or_b32 exec_lo, exec_lo, s12
	s_delay_alu instid0(SALU_CYCLE_1)
	s_or_not1_b32 s12, s13, exec_lo
.LBB1_9:                                ;   in Loop: Header=BB1_11 Depth=1
	s_or_b32 exec_lo, exec_lo, s11
	s_delay_alu instid0(SALU_CYCLE_1) | instskip(SKIP_1) | instid1(SALU_CYCLE_1)
	s_and_not1_b32 s9, s9, exec_lo
	s_and_b32 s11, s12, exec_lo
	s_or_b32 s9, s9, s11
.LBB1_10:                               ;   in Loop: Header=BB1_11 Depth=1
	s_or_b32 exec_lo, exec_lo, s10
	s_delay_alu instid0(SALU_CYCLE_1) | instskip(NEXT) | instid1(SALU_CYCLE_1)
	s_and_b32 s10, exec_lo, s9
	s_or_b32 s0, s10, s0
	s_delay_alu instid0(SALU_CYCLE_1)
	s_and_not1_b32 exec_lo, exec_lo, s0
	s_cbranch_execz .LBB1_21
.LBB1_11:                               ; =>This Inner Loop Header: Depth=1
	s_add_i32 s10, s8, 8
	s_or_b32 s9, s9, exec_lo
	v_lshrrev_b64 v[4:5], s10, v[0:1]
	v_mov_b32_e32 v6, s10
	s_mov_b32 s10, exec_lo
	s_delay_alu instid0(VALU_DEP_2) | instskip(NEXT) | instid1(VALU_DEP_1)
	v_and_b32_e32 v2, 1, v4
	v_cmpx_eq_u64_e32 0, v[2:3]
	s_cbranch_execz .LBB1_10
; %bb.12:                               ;   in Loop: Header=BB1_11 Depth=1
	s_add_i32 s11, s8, 7
	s_mov_b32 s12, -1
	v_lshrrev_b64 v[4:5], s11, v[0:1]
	v_mov_b32_e32 v6, s11
	s_mov_b32 s11, exec_lo
	s_delay_alu instid0(VALU_DEP_2) | instskip(NEXT) | instid1(VALU_DEP_1)
	v_and_b32_e32 v2, 1, v4
	v_cmpx_eq_u64_e32 0, v[2:3]
	s_cbranch_execz .LBB1_9
; %bb.13:                               ;   in Loop: Header=BB1_11 Depth=1
	s_add_i32 s12, s8, 6
	s_mov_b32 s13, -1
	;; [unrolled: 10-line block ×7, first 2 shown]
	v_lshrrev_b64 v[4:5], s17, v[0:1]
	v_mov_b32_e32 v6, s17
	s_mov_b32 s17, exec_lo
	s_delay_alu instid0(VALU_DEP_2) | instskip(NEXT) | instid1(VALU_DEP_1)
	v_and_b32_e32 v2, 1, v4
	v_cmpx_eq_u64_e32 0, v[2:3]
	s_cbranch_execz .LBB1_3
; %bb.19:                               ;   in Loop: Header=BB1_11 Depth=1
	v_lshrrev_b64 v[4:5], s8, v[0:1]
	v_mov_b32_e32 v6, s8
	s_mov_b32 s19, exec_lo
	s_delay_alu instid0(VALU_DEP_2) | instskip(NEXT) | instid1(VALU_DEP_1)
	v_and_b32_e32 v2, 1, v4
	v_cmpx_eq_u64_e32 0, v[2:3]
	s_cbranch_execz .LBB1_2
; %bb.20:                               ;   in Loop: Header=BB1_11 Depth=1
	s_add_i32 s8, s8, -9
	v_mov_b32_e32 v6, -1
	s_cmp_eq_u32 s8, -9
	s_cselect_b32 s18, -1, 0
	s_delay_alu instid0(SALU_CYCLE_1)
	s_or_not1_b32 s18, s18, exec_lo
	s_branch .LBB1_2
.LBB1_21:
	s_or_b32 exec_lo, exec_lo, s0
	v_mov_b32_e32 v2, 2
	v_mov_b32_e32 v3, 0
	s_mov_b32 s9, 0
	s_mov_b32 s8, exec_lo
	v_cmpx_lt_i32_e32 0, v6
	s_cbranch_execz .LBB1_27
; %bb.22:
	v_dual_mov_b32 v5, 0 :: v_dual_add_nc_u32 v4, -1, v6
	v_add_nc_u32_e32 v8, 1, v6
	v_mov_b32_e32 v2, 2
	v_mov_b32_e32 v3, 0
	s_delay_alu instid0(VALU_DEP_4)
	v_dual_mov_b32 v7, v5 :: v_dual_mov_b32 v6, v4
	s_branch .LBB1_24
.LBB1_23:                               ;   in Loop: Header=BB1_24 Depth=1
	s_or_b32 exec_lo, exec_lo, s0
	v_add_nc_u32_e32 v8, -1, v8
	v_add_co_u32 v6, s0, v6, -1
	s_delay_alu instid0(VALU_DEP_1) | instskip(NEXT) | instid1(VALU_DEP_3)
	v_add_co_ci_u32_e64 v7, s0, -1, v7, s0
	v_cmp_gt_u32_e32 vcc_lo, 2, v8
	s_or_b32 s9, vcc_lo, s9
	s_delay_alu instid0(SALU_CYCLE_1)
	s_and_not1_b32 exec_lo, exec_lo, s9
	s_cbranch_execz .LBB1_26
.LBB1_24:                               ; =>This Inner Loop Header: Depth=1
	s_delay_alu instid0(VALU_DEP_3)
	v_and_b32_e32 v4, 1, v2
	v_lshlrev_b32_e32 v9, 1, v2
	v_lshlrev_b32_e32 v10, 2, v2
	;; [unrolled: 1-line block ×4, first 2 shown]
	s_mov_b32 s0, exec_lo
	v_and_or_b32 v4, v9, 4, v4
	v_and_b32_e32 v9, 16, v10
	v_lshlrev_b32_e32 v10, 4, v2
	v_and_b32_e32 v11, 64, v11
	v_and_b32_e32 v12, 0x400, v12
	s_delay_alu instid0(VALU_DEP_3) | instskip(NEXT) | instid1(VALU_DEP_3)
	v_and_b32_e32 v10, 0x100, v10
	v_or3_b32 v4, v4, v9, v11
	v_and_b32_e32 v11, 0x10000, v2
	s_delay_alu instid0(VALU_DEP_2) | instskip(SKIP_1) | instid1(VALU_DEP_2)
	v_or3_b32 v9, v4, v10, v12
	v_and_b32_e32 v4, 64, v2
	v_or_b32_e32 v10, 0x1000, v9
	s_delay_alu instid0(VALU_DEP_2) | instskip(NEXT) | instid1(VALU_DEP_2)
	v_cmp_eq_u64_e32 vcc_lo, 0, v[4:5]
	v_dual_cndmask_b32 v9, v10, v9 :: v_dual_and_b32 v4, 0x80, v2
	s_delay_alu instid0(VALU_DEP_1) | instskip(SKIP_1) | instid1(VALU_DEP_3)
	v_cmp_eq_u64_e32 vcc_lo, 0, v[4:5]
	v_and_b32_e32 v4, 0x100, v2
	v_xor_b32_e32 v10, 0x4000, v9
	s_delay_alu instid0(VALU_DEP_1) | instskip(NEXT) | instid1(VALU_DEP_3)
	v_cndmask_b32_e32 v9, v10, v9, vcc_lo
	v_cmp_eq_u64_e32 vcc_lo, 0, v[4:5]
	v_and_b32_e32 v4, 0x200, v2
	s_delay_alu instid0(VALU_DEP_3) | instskip(NEXT) | instid1(VALU_DEP_1)
	v_xor_b32_e32 v10, 0x10000, v9
	v_cndmask_b32_e32 v9, v10, v9, vcc_lo
	s_delay_alu instid0(VALU_DEP_3) | instskip(SKIP_1) | instid1(VALU_DEP_3)
	v_cmp_eq_u64_e32 vcc_lo, 0, v[4:5]
	v_and_b32_e32 v4, 0x400, v2
	v_xor_b32_e32 v10, 0x40000, v9
	s_delay_alu instid0(VALU_DEP_1) | instskip(NEXT) | instid1(VALU_DEP_3)
	v_cndmask_b32_e32 v9, v10, v9, vcc_lo
	v_cmp_eq_u64_e32 vcc_lo, 0, v[4:5]
	v_and_b32_e32 v4, 0x800, v2
	s_delay_alu instid0(VALU_DEP_3) | instskip(NEXT) | instid1(VALU_DEP_1)
	v_xor_b32_e32 v10, 0x100000, v9
	v_cndmask_b32_e32 v9, v10, v9, vcc_lo
	s_delay_alu instid0(VALU_DEP_3) | instskip(SKIP_1) | instid1(VALU_DEP_3)
	;; [unrolled: 11-line block ×4, first 2 shown]
	v_cmp_eq_u64_e32 vcc_lo, 0, v[4:5]
	v_and_b32_e32 v4, 0x20000, v2
	v_xor_b32_e32 v10, 2.0, v9
	s_delay_alu instid0(VALU_DEP_1) | instskip(SKIP_2) | instid1(VALU_DEP_3)
	v_cndmask_b32_e32 v12, v10, v9, vcc_lo
	v_cmp_ne_u32_e32 vcc_lo, 0, v11
	v_dual_mov_b32 v9, v5 :: v_dual_and_b32 v10, 1, v3
	v_xor_b32_e32 v13, 7, v12
	v_cndmask_b32_e64 v11, 0, 1, vcc_lo
	s_delay_alu instid0(VALU_DEP_3) | instskip(SKIP_1) | instid1(VALU_DEP_3)
	v_cmp_eq_u64_e32 vcc_lo, 0, v[9:10]
	v_and_b32_e32 v10, 2, v3
	v_or_b32_e32 v14, 4, v11
	v_cndmask_b32_e32 v12, v13, v12, vcc_lo
	v_cmp_eq_u64_e32 vcc_lo, 0, v[4:5]
	v_and_b32_e32 v4, 0x40000, v2
	s_delay_alu instid0(VALU_DEP_3) | instskip(SKIP_3) | instid1(VALU_DEP_3)
	v_xor_b32_e32 v13, 28, v12
	v_cndmask_b32_e32 v11, v14, v11, vcc_lo
	v_cmp_eq_u64_e32 vcc_lo, 0, v[9:10]
	v_and_b32_e32 v10, 4, v3
	v_xor_b32_e32 v14, 16, v11
	v_cndmask_b32_e32 v12, v13, v12, vcc_lo
	v_cmp_eq_u64_e32 vcc_lo, 0, v[4:5]
	v_and_b32_e32 v4, 0x80000, v2
	s_delay_alu instid0(VALU_DEP_3) | instskip(SKIP_3) | instid1(VALU_DEP_3)
	v_xor_b32_e32 v13, 0x70, v12
	v_cndmask_b32_e32 v11, v14, v11, vcc_lo
	v_cmp_eq_u64_e32 vcc_lo, 0, v[9:10]
	v_and_b32_e32 v10, 8, v3
	v_xor_b32_e32 v14, 64, v11
	;; [unrolled: 9-line block ×12, first 2 shown]
	v_cndmask_b32_e32 v12, v13, v12, vcc_lo
	v_cmp_eq_u64_e32 vcc_lo, 0, v[4:5]
	v_and_b32_e32 v4, 2.0, v2
	s_delay_alu instid0(VALU_DEP_3) | instskip(SKIP_3) | instid1(VALU_DEP_3)
	v_xor_b32_e32 v13, 0x1c000000, v12
	v_cndmask_b32_e32 v11, v14, v11, vcc_lo
	v_cmp_eq_u64_e32 vcc_lo, 0, v[9:10]
	v_and_b32_e32 v10, 0x4000, v3
	v_xor_b32_e32 v14, 0x10000000, v11
	v_cndmask_b32_e32 v13, v13, v12, vcc_lo
	v_cmp_eq_u64_e32 vcc_lo, 0, v[4:5]
	v_and_b32_e32 v12, 0x8000, v3
	s_delay_alu instid0(VALU_DEP_4) | instskip(SKIP_3) | instid1(VALU_DEP_4)
	v_cndmask_b32_e32 v4, v14, v11, vcc_lo
	v_cmp_eq_u64_e32 vcc_lo, 0, v[9:10]
	v_xor_b32_e32 v14, 0x70000000, v13
	v_mov_b32_e32 v11, v5
	v_xor_b32_e32 v15, 2.0, v4
	s_delay_alu instid0(VALU_DEP_3) | instskip(SKIP_1) | instid1(VALU_DEP_2)
	v_cndmask_b32_e32 v9, v14, v13, vcc_lo
	v_cmp_lt_i32_e32 vcc_lo, -1, v2
	v_xor_b32_e32 v10, -2.0, v9
	s_delay_alu instid0(VALU_DEP_4) | instskip(SKIP_1) | instid1(VALU_DEP_2)
	v_cndmask_b32_e32 v4, v15, v4, vcc_lo
	v_cmp_eq_u64_e32 vcc_lo, 0, v[11:12]
	v_xor_b32_e32 v11, 1, v4
	s_delay_alu instid0(VALU_DEP_4) | instskip(SKIP_1) | instid1(VALU_DEP_3)
	v_cndmask_b32_e32 v12, v10, v9, vcc_lo
	v_dual_mov_b32 v9, v5 :: v_dual_and_b32 v10, 0x10000, v3
	v_cndmask_b32_e32 v4, v11, v4, vcc_lo
	s_delay_alu instid0(VALU_DEP_2) | instskip(NEXT) | instid1(VALU_DEP_2)
	v_cmp_eq_u64_e32 vcc_lo, 0, v[9:10]
	v_xor_b32_e32 v11, 7, v4
	v_and_b32_e32 v10, 0x20000, v3
	s_delay_alu instid0(VALU_DEP_2) | instskip(NEXT) | instid1(VALU_DEP_2)
	v_cndmask_b32_e32 v4, v11, v4, vcc_lo
	v_cmp_eq_u64_e32 vcc_lo, 0, v[9:10]
	v_and_b32_e32 v10, 0x40000, v3
	s_delay_alu instid0(VALU_DEP_3) | instskip(NEXT) | instid1(VALU_DEP_1)
	v_xor_b32_e32 v11, 28, v4
	v_cndmask_b32_e32 v4, v11, v4, vcc_lo
	s_delay_alu instid0(VALU_DEP_3) | instskip(SKIP_1) | instid1(VALU_DEP_3)
	v_cmp_eq_u64_e32 vcc_lo, 0, v[9:10]
	v_and_b32_e32 v10, 0x80000, v3
	v_xor_b32_e32 v11, 0x70, v4
	s_delay_alu instid0(VALU_DEP_1) | instskip(NEXT) | instid1(VALU_DEP_3)
	v_cndmask_b32_e32 v4, v11, v4, vcc_lo
	v_cmp_eq_u64_e32 vcc_lo, 0, v[9:10]
	v_and_b32_e32 v10, 0x100000, v3
	s_delay_alu instid0(VALU_DEP_3) | instskip(NEXT) | instid1(VALU_DEP_1)
	v_xor_b32_e32 v11, 0x1c0, v4
	v_cndmask_b32_e32 v4, v11, v4, vcc_lo
	s_delay_alu instid0(VALU_DEP_3) | instskip(SKIP_1) | instid1(VALU_DEP_3)
	v_cmp_eq_u64_e32 vcc_lo, 0, v[9:10]
	v_and_b32_e32 v10, 0x200000, v3
	v_xor_b32_e32 v11, 0x700, v4
	s_delay_alu instid0(VALU_DEP_1) | instskip(NEXT) | instid1(VALU_DEP_3)
	;; [unrolled: 11-line block ×6, first 2 shown]
	v_cndmask_b32_e32 v4, v11, v4, vcc_lo
	v_cmp_eq_u64_e32 vcc_lo, 0, v[9:10]
	v_and_b32_e32 v10, 2.0, v3
	s_delay_alu instid0(VALU_DEP_3) | instskip(NEXT) | instid1(VALU_DEP_1)
	v_xor_b32_e32 v11, 0x1c000000, v4
	v_cndmask_b32_e32 v4, v11, v4, vcc_lo
	s_delay_alu instid0(VALU_DEP_3) | instskip(SKIP_1) | instid1(VALU_DEP_3)
	v_cmp_eq_u64_e32 vcc_lo, 0, v[9:10]
	v_lshrrev_b64 v[9:10], v6, v[0:1]
	v_xor_b32_e32 v11, 0x70000000, v4
	s_delay_alu instid0(VALU_DEP_1) | instskip(SKIP_2) | instid1(VALU_DEP_3)
	v_dual_cndmask_b32 v4, v11, v4 :: v_dual_and_b32 v9, 1, v9
	v_cmp_gt_i64_e32 vcc_lo, 0, v[2:3]
	v_xor_b32_e32 v2, 7, v12
	v_xor_b32_e32 v10, -2.0, v4
	s_delay_alu instid0(VALU_DEP_2) | instskip(NEXT) | instid1(VALU_DEP_2)
	v_cndmask_b32_e32 v2, v12, v2, vcc_lo
	v_cndmask_b32_e32 v3, v4, v10, vcc_lo
	v_cmpx_eq_u32_e32 1, v9
	s_cbranch_execz .LBB1_23
; %bb.25:                               ;   in Loop: Header=BB1_24 Depth=1
	s_delay_alu instid0(VALU_DEP_2) | instskip(SKIP_1) | instid1(VALU_DEP_2)
	v_ashrrev_i32_e32 v4, 31, v3
	v_lshlrev_b64 v[2:3], 1, v[2:3]
	v_and_b32_e32 v4, 7, v4
	s_delay_alu instid0(VALU_DEP_1)
	v_xor_b32_e32 v2, v4, v2
	s_branch .LBB1_23
.LBB1_26:
	s_or_b32 exec_lo, exec_lo, s9
.LBB1_27:
	s_delay_alu instid0(SALU_CYCLE_1)
	s_or_b32 exec_lo, exec_lo, s8
.LBB1_28:
	s_delay_alu instid0(SALU_CYCLE_1)
	s_or_b32 exec_lo, exec_lo, s1
	s_cmp_eq_u64 s[2:3], 0
	s_cbranch_scc1 .LBB1_31
; %bb.29:
	s_add_u32 s0, s6, -1
	s_addc_u32 s1, s7, -1
	.p2align	6
.LBB1_30:                               ; =>This Inner Loop Header: Depth=1
	v_ashrrev_i32_e32 v0, 31, v3
	v_lshlrev_b64 v[2:3], 1, v[2:3]
	s_add_u32 s2, s2, -1
	s_addc_u32 s3, s3, -1
	s_delay_alu instid0(SALU_CYCLE_1) | instskip(SKIP_1) | instid1(VALU_DEP_2)
	s_cmp_eq_u64 s[2:3], 0
	v_and_b32_e32 v0, 7, v0
	v_and_b32_e32 v1, s1, v3
	s_delay_alu instid0(VALU_DEP_2) | instskip(NEXT) | instid1(VALU_DEP_1)
	v_xor_b32_e32 v2, v0, v2
	v_and_b32_e32 v0, s0, v2
	s_delay_alu instid0(VALU_DEP_1) | instskip(NEXT) | instid1(VALU_DEP_1)
	v_lshlrev_b64 v[0:1], 3, v[0:1]
	v_add_co_u32 v0, vcc_lo, s4, v0
	s_delay_alu instid0(VALU_DEP_2)
	v_add_co_ci_u32_e32 v1, vcc_lo, s5, v1, vcc_lo
	global_atomic_xor_b64 v[0:1], v[2:3], off
	s_cbranch_scc0 .LBB1_30
.LBB1_31:
	s_nop 0
	s_sendmsg sendmsg(MSG_DEALLOC_VGPRS)
	s_endpgm
	.section	.rodata,"a",@progbits
	.p2align	6, 0x0
	.amdhsa_kernel _Z6updatePyy
		.amdhsa_group_segment_fixed_size 0
		.amdhsa_private_segment_fixed_size 0
		.amdhsa_kernarg_size 16
		.amdhsa_user_sgpr_count 15
		.amdhsa_user_sgpr_dispatch_ptr 0
		.amdhsa_user_sgpr_queue_ptr 0
		.amdhsa_user_sgpr_kernarg_segment_ptr 1
		.amdhsa_user_sgpr_dispatch_id 0
		.amdhsa_user_sgpr_private_segment_size 0
		.amdhsa_wavefront_size32 1
		.amdhsa_uses_dynamic_stack 0
		.amdhsa_enable_private_segment 0
		.amdhsa_system_sgpr_workgroup_id_x 1
		.amdhsa_system_sgpr_workgroup_id_y 0
		.amdhsa_system_sgpr_workgroup_id_z 0
		.amdhsa_system_sgpr_workgroup_info 0
		.amdhsa_system_vgpr_workitem_id 0
		.amdhsa_next_free_vgpr 16
		.amdhsa_next_free_sgpr 20
		.amdhsa_reserve_vcc 1
		.amdhsa_float_round_mode_32 0
		.amdhsa_float_round_mode_16_64 0
		.amdhsa_float_denorm_mode_32 3
		.amdhsa_float_denorm_mode_16_64 3
		.amdhsa_dx10_clamp 1
		.amdhsa_ieee_mode 1
		.amdhsa_fp16_overflow 0
		.amdhsa_workgroup_processor_mode 1
		.amdhsa_memory_ordered 1
		.amdhsa_forward_progress 0
		.amdhsa_shared_vgpr_count 0
		.amdhsa_exception_fp_ieee_invalid_op 0
		.amdhsa_exception_fp_denorm_src 0
		.amdhsa_exception_fp_ieee_div_zero 0
		.amdhsa_exception_fp_ieee_overflow 0
		.amdhsa_exception_fp_ieee_underflow 0
		.amdhsa_exception_fp_ieee_inexact 0
		.amdhsa_exception_int_div_zero 0
	.end_amdhsa_kernel
	.text
.Lfunc_end1:
	.size	_Z6updatePyy, .Lfunc_end1-_Z6updatePyy
                                        ; -- End function
	.section	.AMDGPU.csdata,"",@progbits
; Kernel info:
; codeLenInByte = 3572
; NumSgprs: 22
; NumVgprs: 16
; ScratchSize: 0
; MemoryBound: 0
; FloatMode: 240
; IeeeMode: 1
; LDSByteSize: 0 bytes/workgroup (compile time only)
; SGPRBlocks: 2
; VGPRBlocks: 1
; NumSGPRsForWavesPerEU: 22
; NumVGPRsForWavesPerEU: 16
; Occupancy: 16
; WaveLimiterHint : 0
; COMPUTE_PGM_RSRC2:SCRATCH_EN: 0
; COMPUTE_PGM_RSRC2:USER_SGPR: 15
; COMPUTE_PGM_RSRC2:TRAP_HANDLER: 0
; COMPUTE_PGM_RSRC2:TGID_X_EN: 1
; COMPUTE_PGM_RSRC2:TGID_Y_EN: 0
; COMPUTE_PGM_RSRC2:TGID_Z_EN: 0
; COMPUTE_PGM_RSRC2:TIDIG_COMP_CNT: 0
	.text
	.p2alignl 7, 3214868480
	.fill 96, 4, 3214868480
	.type	__hip_cuid_da21ca45545472b4,@object ; @__hip_cuid_da21ca45545472b4
	.section	.bss,"aw",@nobits
	.globl	__hip_cuid_da21ca45545472b4
__hip_cuid_da21ca45545472b4:
	.byte	0                               ; 0x0
	.size	__hip_cuid_da21ca45545472b4, 1

	.ident	"AMD clang version 19.0.0git (https://github.com/RadeonOpenCompute/llvm-project roc-6.4.0 25133 c7fe45cf4b819c5991fe208aaa96edf142730f1d)"
	.section	".note.GNU-stack","",@progbits
	.addrsig
	.addrsig_sym __hip_cuid_da21ca45545472b4
	.amdgpu_metadata
---
amdhsa.kernels:
  - .args:
      - .address_space:  global
        .offset:         0
        .size:           8
        .value_kind:     global_buffer
      - .offset:         8
        .size:           8
        .value_kind:     by_value
      - .offset:         16
        .size:           4
        .value_kind:     hidden_block_count_x
      - .offset:         20
        .size:           4
        .value_kind:     hidden_block_count_y
      - .offset:         24
        .size:           4
        .value_kind:     hidden_block_count_z
      - .offset:         28
        .size:           2
        .value_kind:     hidden_group_size_x
      - .offset:         30
        .size:           2
        .value_kind:     hidden_group_size_y
      - .offset:         32
        .size:           2
        .value_kind:     hidden_group_size_z
      - .offset:         34
        .size:           2
        .value_kind:     hidden_remainder_x
      - .offset:         36
        .size:           2
        .value_kind:     hidden_remainder_y
      - .offset:         38
        .size:           2
        .value_kind:     hidden_remainder_z
      - .offset:         56
        .size:           8
        .value_kind:     hidden_global_offset_x
      - .offset:         64
        .size:           8
        .value_kind:     hidden_global_offset_y
      - .offset:         72
        .size:           8
        .value_kind:     hidden_global_offset_z
      - .offset:         80
        .size:           2
        .value_kind:     hidden_grid_dims
    .group_segment_fixed_size: 0
    .kernarg_segment_align: 8
    .kernarg_segment_size: 272
    .language:       OpenCL C
    .language_version:
      - 2
      - 0
    .max_flat_workgroup_size: 1024
    .name:           _Z9initTablePyy
    .private_segment_fixed_size: 0
    .sgpr_count:     18
    .sgpr_spill_count: 0
    .symbol:         _Z9initTablePyy.kd
    .uniform_work_group_size: 1
    .uses_dynamic_stack: false
    .vgpr_count:     5
    .vgpr_spill_count: 0
    .wavefront_size: 32
    .workgroup_processor_mode: 1
  - .args:
      - .address_space:  global
        .offset:         0
        .size:           8
        .value_kind:     global_buffer
      - .offset:         8
        .size:           8
        .value_kind:     by_value
    .group_segment_fixed_size: 0
    .kernarg_segment_align: 8
    .kernarg_segment_size: 16
    .language:       OpenCL C
    .language_version:
      - 2
      - 0
    .max_flat_workgroup_size: 1024
    .name:           _Z6updatePyy
    .private_segment_fixed_size: 0
    .sgpr_count:     22
    .sgpr_spill_count: 0
    .symbol:         _Z6updatePyy.kd
    .uniform_work_group_size: 1
    .uses_dynamic_stack: false
    .vgpr_count:     16
    .vgpr_spill_count: 0
    .wavefront_size: 32
    .workgroup_processor_mode: 1
amdhsa.target:   amdgcn-amd-amdhsa--gfx1100
amdhsa.version:
  - 1
  - 2
...

	.end_amdgpu_metadata
